;; amdgpu-corpus repo=linkedin/Liger-Kernel kind=triton arch=gfx950 opt=O3 lang=triton
	.amdgcn_target "amdgcn-amd-amdhsa--gfx950"
	.amdhsa_code_object_version 5
	.text
	.globl	_group_norm_forward_kernel      ; -- Begin function _group_norm_forward_kernel
	.p2align	8
	.type	_group_norm_forward_kernel,@function
_group_norm_forward_kernel:             ; @_group_norm_forward_kernel
.Lfunc_begin0:
	.cfi_sections .debug_frame
	.cfi_startproc
; %bb.62:
	.file	1 "/root/src/amdgpu-assembly/repos/linkedin__Liger-Kernel/triton_aot_kernels" "group_norm_aot.py"
	.loc	1 10 0 prologue_end             ; group_norm_aot.py:10:0
	s_load_dwordx2 s[2:3], s[0:1], 0x0
	s_load_dwordx8 s[4:11], s[0:1], 0x8
	s_load_dwordx4 s[12:15], s[0:1], 0x28
	s_waitcnt lgkmcnt(0)
	s_branch .LBB0_0
	.loc	1 0 0 is_stmt 0                 ; :0:0
.Ltmp0:
	.p2align	8
; %bb.63:
.LBB0_0:
.Ltmp1:
	.loc	1 37 25 is_stmt 1               ; group_norm_aot.py:37:25
	s_mul_i32 s8, s8, s16
	.loc	1 37 52 is_stmt 0               ; group_norm_aot.py:37:52
	s_mul_i32 s9, s9, s17
	s_load_dwordx4 s[20:23], s[0:1], 0x40
	s_load_dword s34, s[0:1], 0x50
	.loc	1 37 40                         ; group_norm_aot.py:37:40
	s_add_i32 s8, s9, s8
	.loc	1 37 13                         ; group_norm_aot.py:37:13
	s_ashr_i32 s9, s8, 31
	s_lshl_b64 s[8:9], s[8:9], 2
	.loc	1 78 83 is_stmt 1               ; group_norm_aot.py:78:83
	v_readfirstlane_b32 s33, v0
	.loc	1 37 13                         ; group_norm_aot.py:37:13
	s_add_u32 s18, s6, s8
	s_addc_u32 s19, s7, s9
	.loc	1 40 31                         ; group_norm_aot.py:40:31
	s_and_b32 s6, s33, 0xc0
	v_and_b32_e32 v14, 63, v0
	.loc	1 45 38                         ; group_norm_aot.py:45:38
	s_waitcnt lgkmcnt(0)
	s_cmp_gt_i32 s34, 0
	.loc	1 40 31                         ; group_norm_aot.py:40:31
	v_or_b32_e32 v2, s6, v14
	s_mov_b32 s24, 0
	.loc	1 45 38                         ; group_norm_aot.py:45:38
	s_cselect_b64 s[26:27], -1, 0
	s_cmp_lt_i32 s34, 1
	v_add_u32_e32 v15, s6, v14
	s_cbranch_scc1 .LBB0_23
; %bb.1:                                ; %.lr.ph
	.loc	1 0 38 is_stmt 0                ; group_norm_aot.py:0:38
	s_lshr_b32 s6, s33, 4
	s_and_b32 s6, s6, 12
	s_add_i32 s35, s6, 0
	v_cmp_gt_u32_e64 s[6:7], 4, v0
	v_lshl_add_u32 v8, v0, 2, 0
	v_and_b32_e32 v0, 3, v0
	v_cmp_eq_u32_e64 s[8:9], 0, v0
	v_mov_b32_e32 v3, 0
	v_cmp_eq_u32_e32 vcc, 0, v14
	s_and_b64 s[28:29], s[6:7], s[8:9]
	v_mov_b32_e32 v6, v3
	v_mov_b32_e32 v7, v3
	s_branch .LBB0_3
.LBB0_2:                                ;   in Loop: Header=BB0_3 Depth=1
	s_or_b64 exec, exec, s[8:9]
.Ltmp2:
	.file	2 "/root/.local/lib/python3.13/site-packages/triton/language" "standard.py"
	.loc	2 293 36 is_stmt 1              ; standard.py:293:36 @[ group_norm_aot.py:51:30 ]
	s_waitcnt lgkmcnt(0)
	s_barrier
	ds_read_b32 v1, v3
.Ltmp3:
	.loc	1 45 38                         ; group_norm_aot.py:45:38
	s_addk_i32 s24, 0x400
	.loc	1 49 13                         ; group_norm_aot.py:49:13
	v_add_f32_e32 v7, v7, v0
	.loc	1 45 38                         ; group_norm_aot.py:45:38
	s_cmp_lt_i32 s24, s34
	.loc	1 51 23                         ; group_norm_aot.py:51:23
	s_waitcnt lgkmcnt(0)
	v_add_f32_e32 v6, v6, v1
	.loc	1 45 38                         ; group_norm_aot.py:45:38
	s_cbranch_scc0 .LBB0_24
.LBB0_3:                                ; =>This Inner Loop Header: Depth=1
	.loc	1 46 34                         ; group_norm_aot.py:46:34
	v_add_u32_e32 v0, s24, v15
	.loc	1 48 20                         ; group_norm_aot.py:48:20
	v_mov_b32_e32 v9, 0
	.loc	1 47 37                         ; group_norm_aot.py:47:37
	v_cmp_gt_i32_e64 s[8:9], s34, v0
	v_mov_b32_e32 v1, v9
	.loc	1 48 20                         ; group_norm_aot.py:48:20
	s_and_saveexec_b64 s[30:31], s[8:9]
	s_cbranch_execz .LBB0_5
; %bb.4:                                ;   in Loop: Header=BB0_3 Depth=1
	.loc	1 0 20 is_stmt 0                ; group_norm_aot.py:0:20
	v_ashrrev_i32_e32 v1, 31, v0
	v_lshl_add_u64 v[4:5], v[0:1], 2, s[18:19]
	.loc	1 48 20                         ; group_norm_aot.py:48:20
	global_load_dword v1, v[4:5], off
.LBB0_5:                                ;   in Loop: Header=BB0_3 Depth=1
	.loc	1 0 20                          ; group_norm_aot.py:0:20
	s_or_b64 exec, exec, s[30:31]
	.loc	1 46 34 is_stmt 1               ; group_norm_aot.py:46:34
	v_add_u32_e32 v4, 0x100, v0
	.loc	1 48 28                         ; group_norm_aot.py:48:28
	s_ashr_i32 s25, s24, 31
	.loc	1 47 37                         ; group_norm_aot.py:47:37
	v_cmp_gt_i32_e64 s[8:9], s34, v4
	v_lshl_add_u64 v[4:5], s[24:25], 0, v[2:3]
	.loc	1 48 28                         ; group_norm_aot.py:48:28
	v_lshl_add_u64 v[4:5], v[4:5], 2, s[18:19]
	.loc	1 48 20 is_stmt 0               ; group_norm_aot.py:48:20
	s_and_saveexec_b64 s[30:31], s[8:9]
	s_cbranch_execz .LBB0_7
; %bb.6:                                ;   in Loop: Header=BB0_3 Depth=1
	global_load_dword v9, v[4:5], off offset:1024
.LBB0_7:                                ;   in Loop: Header=BB0_3 Depth=1
	.loc	1 0 20                          ; group_norm_aot.py:0:20
	s_or_b64 exec, exec, s[30:31]
	.loc	1 46 34 is_stmt 1               ; group_norm_aot.py:46:34
	v_add_u32_e32 v10, 0x200, v0
	.loc	1 47 37                         ; group_norm_aot.py:47:37
	v_cmp_gt_i32_e64 s[8:9], s34, v10
	.loc	1 48 20                         ; group_norm_aot.py:48:20
	v_mov_b32_e32 v10, 0
	v_mov_b32_e32 v11, v10
	s_and_saveexec_b64 s[30:31], s[8:9]
	s_cbranch_execz .LBB0_9
; %bb.8:                                ;   in Loop: Header=BB0_3 Depth=1
	global_load_dword v11, v[4:5], off offset:2048
.LBB0_9:                                ;   in Loop: Header=BB0_3 Depth=1
	.loc	1 0 20 is_stmt 0                ; group_norm_aot.py:0:20
	s_or_b64 exec, exec, s[30:31]
	.loc	1 47 37 is_stmt 1               ; group_norm_aot.py:47:37
	v_add_u32_e32 v0, 0x300, v0
	v_cmp_gt_i32_e64 s[8:9], s34, v0
	.loc	1 48 20                         ; group_norm_aot.py:48:20
	s_and_saveexec_b64 s[30:31], s[8:9]
	s_cbranch_execz .LBB0_11
; %bb.10:                               ;   in Loop: Header=BB0_3 Depth=1
	global_load_dword v10, v[4:5], off offset:3072
.LBB0_11:                               ;   in Loop: Header=BB0_3 Depth=1
	.loc	1 0 20 is_stmt 0                ; group_norm_aot.py:0:20
	s_or_b64 exec, exec, s[30:31]
.Ltmp4:
	.loc	2 263 15 is_stmt 1              ; standard.py:263:15 @[ standard.py:293:36 @[ group_norm_aot.py:49:20 ] ]
	s_waitcnt vmcnt(0)
	v_add_f32_e32 v0, v1, v9
	v_add_f32_e32 v0, v0, v11
	;; [unrolled: 1-line block ×3, first 2 shown]
.Ltmp5:
	.loc	2 293 36                        ; standard.py:293:36 @[ group_norm_aot.py:49:20 ]
	s_waitcnt lgkmcnt(0)
	s_barrier
.Ltmp6:
	.loc	2 263 15                        ; standard.py:263:15 @[ standard.py:293:36 @[ group_norm_aot.py:49:20 ] ]
	v_add_f32_dpp v0, v0, v0 row_shr:8 row_mask:0xf bank_mask:0xf bound_ctrl:1
	s_nop 1
	v_add_f32_dpp v0, v0, v0 row_shr:4 row_mask:0xf bank_mask:0xf bound_ctrl:1
	s_nop 1
	;; [unrolled: 2-line block ×3, first 2 shown]
	v_add_f32_dpp v0, v0, v0 row_shr:1 row_mask:0xf bank_mask:0xf bound_ctrl:1
.Ltmp7:
	.loc	2 293 36                        ; standard.py:293:36 @[ group_norm_aot.py:49:20 ]
	v_mov_b32_e32 v4, v0
	s_nop 1
	v_mov_b32_dpp v4, v4 row_bcast:15 row_mask:0xa bank_mask:0xf bound_ctrl:1
.Ltmp8:
	.loc	2 263 15                        ; standard.py:263:15 @[ standard.py:293:36 @[ group_norm_aot.py:49:20 ] ]
	v_add_f32_e32 v0, v0, v4
	s_nop 1
	v_add_f32_dpp v0, v0, v0 row_bcast:31 row_mask:0xf bank_mask:0xf bound_ctrl:1
.Ltmp9:
	.loc	2 293 36                        ; standard.py:293:36 @[ group_norm_aot.py:49:20 ]
	s_nop 0
	v_readlane_b32 s25, v0, 63
	s_and_saveexec_b64 s[8:9], vcc
; %bb.12:                               ;   in Loop: Header=BB0_3 Depth=1
	v_mov_b32_e32 v0, s35
	v_mov_b32_e32 v4, s25
	ds_write_b32 v0, v4
.Ltmp10:
; %bb.13:                               ;   in Loop: Header=BB0_3 Depth=1
	.loc	2 0 36 is_stmt 0                ; standard.py:0:36
	s_or_b64 exec, exec, s[8:9]
	.loc	1 49 20 is_stmt 1               ; group_norm_aot.py:49:20
	v_mov_b32_e32 v0, 0
.Ltmp11:
	.loc	2 293 36                        ; standard.py:293:36 @[ group_norm_aot.py:49:20 ]
	s_waitcnt lgkmcnt(0)
	s_barrier
	s_and_saveexec_b64 s[8:9], s[6:7]
; %bb.14:                               ;   in Loop: Header=BB0_3 Depth=1
	ds_read_b32 v0, v8
; %bb.15:                               ;   in Loop: Header=BB0_3 Depth=1
	.loc	2 0 36 is_stmt 0                ; standard.py:0:36
	s_or_b64 exec, exec, s[8:9]
	.loc	2 293 36                        ; standard.py:293:36 @[ group_norm_aot.py:49:20 ]
	s_waitcnt lgkmcnt(0)
	v_mov_b32_e32 v4, v0
	s_nop 1
	v_mov_b32_dpp v4, v4 quad_perm:[2,3,0,1] row_mask:0xf bank_mask:0xf
.Ltmp12:
	.loc	2 263 15 is_stmt 1              ; standard.py:263:15 @[ standard.py:293:36 @[ group_norm_aot.py:49:20 ] ]
	v_add_f32_e32 v0, v0, v4
.Ltmp13:
	.loc	2 293 36                        ; standard.py:293:36 @[ group_norm_aot.py:49:20 ]
	v_mov_b32_e32 v4, v0
	s_nop 1
	v_mov_b32_dpp v4, v4 quad_perm:[1,0,3,2] row_mask:0xf bank_mask:0xf
	s_and_saveexec_b64 s[8:9], s[28:29]
; %bb.16:                               ;   in Loop: Header=BB0_3 Depth=1
	.loc	2 0 36 is_stmt 0                ; standard.py:0:36
	v_add_f32_e32 v0, v0, v4
	.loc	2 293 36                        ; standard.py:293:36 @[ group_norm_aot.py:49:20 ]
	ds_write_b32 v8, v0
.Ltmp14:
; %bb.17:                               ;   in Loop: Header=BB0_3 Depth=1
	.loc	2 0 36                          ; standard.py:0:36
	s_or_b64 exec, exec, s[8:9]
.Ltmp15:
	.loc	2 263 15 is_stmt 1              ; standard.py:263:15 @[ standard.py:293:36 @[ group_norm_aot.py:51:30 ] ]
	v_mul_f32_e32 v1, v1, v1
	v_fmac_f32_e32 v1, v9, v9
	v_fmac_f32_e32 v1, v11, v11
	;; [unrolled: 1-line block ×3, first 2 shown]
.Ltmp16:
	.loc	2 293 36                        ; standard.py:293:36 @[ group_norm_aot.py:49:20 ]
	s_waitcnt lgkmcnt(0)
	s_barrier
.Ltmp17:
	.loc	2 263 15                        ; standard.py:263:15 @[ standard.py:293:36 @[ group_norm_aot.py:51:30 ] ]
	v_add_f32_dpp v1, v1, v1 row_shr:8 row_mask:0xf bank_mask:0xf bound_ctrl:1
.Ltmp18:
	.loc	2 293 36                        ; standard.py:293:36 @[ group_norm_aot.py:49:20 ]
	ds_read_b32 v0, v3
.Ltmp19:
	.loc	2 293 36 is_stmt 0              ; standard.py:293:36 @[ group_norm_aot.py:51:30 ]
	s_waitcnt lgkmcnt(0)
.Ltmp20:
	.loc	2 263 15 is_stmt 1              ; standard.py:263:15 @[ standard.py:293:36 @[ group_norm_aot.py:51:30 ] ]
	v_add_f32_dpp v1, v1, v1 row_shr:4 row_mask:0xf bank_mask:0xf bound_ctrl:1
.Ltmp21:
	.loc	2 293 36                        ; standard.py:293:36 @[ group_norm_aot.py:51:30 ]
	s_barrier
.Ltmp22:
	.loc	2 263 15                        ; standard.py:263:15 @[ standard.py:293:36 @[ group_norm_aot.py:51:30 ] ]
	s_nop 0
	v_add_f32_dpp v1, v1, v1 row_shr:2 row_mask:0xf bank_mask:0xf bound_ctrl:1
	s_nop 1
	v_add_f32_dpp v1, v1, v1 row_shr:1 row_mask:0xf bank_mask:0xf bound_ctrl:1
.Ltmp23:
	.loc	2 293 36                        ; standard.py:293:36 @[ group_norm_aot.py:51:30 ]
	v_mov_b32_e32 v4, v1
	s_nop 1
	v_mov_b32_dpp v4, v4 row_bcast:15 row_mask:0xa bank_mask:0xf bound_ctrl:1
.Ltmp24:
	.loc	2 263 15                        ; standard.py:263:15 @[ standard.py:293:36 @[ group_norm_aot.py:51:30 ] ]
	v_add_f32_e32 v1, v1, v4
	s_nop 1
	v_add_f32_dpp v1, v1, v1 row_bcast:31 row_mask:0xf bank_mask:0xf bound_ctrl:1
.Ltmp25:
	.loc	2 293 36                        ; standard.py:293:36 @[ group_norm_aot.py:51:30 ]
	s_nop 0
	v_readlane_b32 s25, v1, 63
	s_and_saveexec_b64 s[8:9], vcc
; %bb.18:                               ;   in Loop: Header=BB0_3 Depth=1
	v_mov_b32_e32 v1, s35
	v_mov_b32_e32 v4, s25
	ds_write_b32 v1, v4
.Ltmp26:
; %bb.19:                               ;   in Loop: Header=BB0_3 Depth=1
	.loc	2 0 36 is_stmt 0                ; standard.py:0:36
	s_or_b64 exec, exec, s[8:9]
	.loc	1 51 30 is_stmt 1               ; group_norm_aot.py:51:30
	v_mov_b32_e32 v1, 0
.Ltmp27:
	.loc	2 293 36                        ; standard.py:293:36 @[ group_norm_aot.py:51:30 ]
	s_waitcnt lgkmcnt(0)
	s_barrier
	s_and_saveexec_b64 s[8:9], s[6:7]
; %bb.20:                               ;   in Loop: Header=BB0_3 Depth=1
	ds_read_b32 v1, v8
; %bb.21:                               ;   in Loop: Header=BB0_3 Depth=1
	.loc	2 0 36 is_stmt 0                ; standard.py:0:36
	s_or_b64 exec, exec, s[8:9]
	.loc	2 293 36                        ; standard.py:293:36 @[ group_norm_aot.py:51:30 ]
	s_waitcnt lgkmcnt(0)
	v_mov_b32_e32 v4, v1
	s_nop 1
	v_mov_b32_dpp v4, v4 quad_perm:[2,3,0,1] row_mask:0xf bank_mask:0xf
.Ltmp28:
	.loc	2 263 15 is_stmt 1              ; standard.py:263:15 @[ standard.py:293:36 @[ group_norm_aot.py:51:30 ] ]
	v_add_f32_e32 v1, v1, v4
.Ltmp29:
	.loc	2 293 36                        ; standard.py:293:36 @[ group_norm_aot.py:51:30 ]
	v_mov_b32_e32 v4, v1
	s_nop 1
	v_mov_b32_dpp v4, v4 quad_perm:[1,0,3,2] row_mask:0xf bank_mask:0xf
	s_and_saveexec_b64 s[8:9], s[28:29]
	s_cbranch_execz .LBB0_2
; %bb.22:                               ;   in Loop: Header=BB0_3 Depth=1
	.loc	2 0 36 is_stmt 0                ; standard.py:0:36
	v_add_f32_e32 v1, v1, v4
	.loc	2 293 36                        ; standard.py:293:36 @[ group_norm_aot.py:51:30 ]
	ds_write_b32 v8, v1
	s_branch .LBB0_2
.Ltmp30:
.LBB0_23:
	.loc	2 0 36                          ; standard.py:0:36
	v_mov_b32_e32 v6, 0
	v_mov_b32_e32 v7, 0
.LBB0_24:                               ; %Flow13
	.loc	1 53 12 is_stmt 1               ; group_norm_aot.py:53:12
	v_cvt_f32_i32_e32 v0, s34
	s_load_dwordx2 s[8:9], s[0:1], 0x38
	s_load_dwordx2 s[6:7], s[0:1], 0x54
	s_mov_b32 s24, 0
	v_div_scale_f32 v1, s[0:1], v0, v0, v7
	v_rcp_f32_e32 v4, v1
	v_div_scale_f32 v3, vcc, v7, v0, v7
	.loc	1 56 30                         ; group_norm_aot.py:56:30
	v_div_scale_f32 v5, s[0:1], v0, v0, v6
	.loc	1 53 12                         ; group_norm_aot.py:53:12
	v_fma_f32 v9, -v1, v4, 1.0
	v_fmac_f32_e32 v4, v9, v4
	v_mul_f32_e32 v9, v3, v4
	.loc	1 56 30                         ; group_norm_aot.py:56:30
	v_rcp_f32_e32 v8, v5
	.loc	1 53 12                         ; group_norm_aot.py:53:12
	v_fma_f32 v10, -v1, v9, v3
	v_fmac_f32_e32 v9, v10, v4
	v_fma_f32 v1, -v1, v9, v3
	v_div_fmas_f32 v1, v1, v4, v9
	v_div_fixup_f32 v16, v1, v0, v7
	.loc	1 56 30                         ; group_norm_aot.py:56:30
	v_fma_f32 v1, -v5, v8, 1.0
	v_fmac_f32_e32 v8, v1, v8
	v_div_scale_f32 v1, vcc, v6, v0, v6
	v_mul_f32_e32 v3, v1, v8
	v_fma_f32 v4, -v5, v3, v1
	.loc	1 64 45                         ; group_norm_aot.py:64:45
	s_waitcnt lgkmcnt(0)
	s_abs_i32 s0, s6
	.loc	1 56 30                         ; group_norm_aot.py:56:30
	v_fmac_f32_e32 v3, v4, v8
	.loc	1 64 45                         ; group_norm_aot.py:64:45
	v_cvt_f32_u32_e32 v4, s0
	.loc	1 56 30                         ; group_norm_aot.py:56:30
	v_fma_f32 v1, -v5, v3, v1
	v_div_fmas_f32 v1, v1, v8, v3
	v_div_fixup_f32 v0, v1, v0, v6
	.loc	1 64 45                         ; group_norm_aot.py:64:45
	v_rcp_iflag_f32_e32 v1, v4
	.loc	1 56 46                         ; group_norm_aot.py:56:46
	v_fma_f32 v0, -v16, v16, v0
	.loc	1 59 28                         ; group_norm_aot.py:59:28
	v_add_f32_e32 v0, s7, v0
	.loc	1 59 17 is_stmt 0               ; group_norm_aot.py:59:17
	v_rsq_f32_e32 v17, v0
	.loc	1 64 45 is_stmt 1               ; group_norm_aot.py:64:45
	v_mul_f32_e32 v0, 0x4f7ffffe, v1
	v_cvt_u32_f32_e32 v0, v0
	.loc	1 65 38                         ; group_norm_aot.py:65:38
	s_andn2_b64 vcc, exec, s[26:27]
	.loc	1 64 45                         ; group_norm_aot.py:64:45
	v_readfirstlane_b32 s1, v0
	s_cbranch_vccnz .LBB0_59
; %bb.25:                               ; %.lr.ph6
	s_sub_i32 s27, 0, s0
	s_mul_i32 s27, s27, s1
	s_mul_hi_u32 s27, s1, s27
	s_abs_i32 s26, s34
	s_add_i32 s1, s1, s27
	s_ashr_i32 s7, s34, 31
	s_ashr_i32 s25, s6, 31
	s_mul_hi_u32 s1, s26, s1
	s_xor_b32 s7, s7, s25
	s_mul_i32 s25, s1, s0
	s_sub_i32 s25, s26, s25
	s_add_i32 s26, s1, 1
	s_sub_i32 s27, s25, s0
	s_cmp_ge_u32 s25, s0
	s_cselect_b32 s1, s26, s1
	s_cselect_b32 s25, s27, s25
	s_add_i32 s26, s1, 1
	s_cmp_ge_u32 s25, s0
	s_cselect_b32 s0, s26, s1
	s_xor_b32 s0, s0, s7
	s_sub_i32 s7, s0, s7
	.loc	1 38 25                         ; group_norm_aot.py:38:25
	s_mul_i32 s4, s4, s16
	.loc	1 38 52 is_stmt 0               ; group_norm_aot.py:38:52
	s_mul_i32 s0, s5, s17
	.loc	1 38 40                         ; group_norm_aot.py:38:40
	s_add_i32 s0, s0, s4
	.loc	1 38 13                         ; group_norm_aot.py:38:13
	s_ashr_i32 s1, s0, 31
	s_lshl_b64 s[0:1], s[0:1], 2
	s_add_u32 s26, s2, s0
	s_addc_u32 s27, s3, s1
	s_abs_i32 s28, s7
	v_cvt_f32_u32_e32 v0, s28
	s_sub_i32 s0, 0, s28
	.loc	1 71 37 is_stmt 1               ; group_norm_aot.py:71:37
	s_mul_i32 s29, s6, s17
	v_mov_b32_e32 v3, 0
	v_rcp_iflag_f32_e32 v0, v0
	s_ashr_i32 s30, s7, 31
	s_movk_i32 s31, 0x100
	s_movk_i32 s35, 0x200
	v_mul_f32_e32 v0, 0x4f7ffffe, v0
	v_cvt_u32_f32_e32 v0, v0
	s_movk_i32 s36, 0x300
	v_mul_lo_u32 v1, s0, v0
	v_mul_hi_u32 v1, v0, v1
	v_add_u32_e32 v18, v0, v1
	s_branch .LBB0_27
.LBB0_26:                               ;   in Loop: Header=BB0_27 Depth=1
	.loc	1 0 37 is_stmt 0                ; group_norm_aot.py:0:37
	s_or_b64 exec, exec, s[0:1]
	.loc	1 65 38 is_stmt 1               ; group_norm_aot.py:65:38
	s_addk_i32 s24, 0x400
	s_cmp_lt_i32 s24, s34
	s_cbranch_scc0 .LBB0_59
.LBB0_27:                               ; =>This Inner Loop Header: Depth=1
	.loc	1 66 34                         ; group_norm_aot.py:66:34
	v_add_u32_e32 v0, s24, v15
	.loc	1 67 37                         ; group_norm_aot.py:67:37
	v_cmp_gt_i32_e32 vcc, s34, v0
	v_ashrrev_i32_e32 v1, 31, v0
	s_waitcnt vmcnt(0)
	v_mov_b32_e32 v19, v16
	.loc	1 68 20                         ; group_norm_aot.py:68:20
	s_and_saveexec_b64 s[0:1], vcc
	s_cbranch_execz .LBB0_29
; %bb.28:                               ;   in Loop: Header=BB0_27 Depth=1
	.loc	1 0 20 is_stmt 0                ; group_norm_aot.py:0:20
	v_lshl_add_u64 v[4:5], v[0:1], 2, s[18:19]
	.loc	1 68 20                         ; group_norm_aot.py:68:20
	global_load_dword v19, v[4:5], off
.LBB0_29:                               ;   in Loop: Header=BB0_27 Depth=1
	.loc	1 0 20                          ; group_norm_aot.py:0:20
	s_or_b64 exec, exec, s[0:1]
	.loc	1 68 28                         ; group_norm_aot.py:68:28
	s_ashr_i32 s25, s24, 31
	.loc	1 66 34 is_stmt 1               ; group_norm_aot.py:66:34
	v_add_u32_e32 v8, 0x100, v0
	v_lshl_add_u64 v[4:5], s[24:25], 0, v[2:3]
	.loc	1 67 37                         ; group_norm_aot.py:67:37
	v_cmp_gt_i32_e64 s[0:1], s34, v8
	.loc	1 68 28                         ; group_norm_aot.py:68:28
	v_lshl_add_u64 v[6:7], v[4:5], 2, s[18:19]
	v_mov_b32_e32 v20, v16
	.loc	1 68 20 is_stmt 0               ; group_norm_aot.py:68:20
	s_and_saveexec_b64 s[2:3], s[0:1]
	s_cbranch_execz .LBB0_31
; %bb.30:                               ;   in Loop: Header=BB0_27 Depth=1
	global_load_dword v20, v[6:7], off offset:1024
.LBB0_31:                               ;   in Loop: Header=BB0_27 Depth=1
	.loc	1 0 20                          ; group_norm_aot.py:0:20
	s_or_b64 exec, exec, s[2:3]
	.loc	1 66 34 is_stmt 1               ; group_norm_aot.py:66:34
	v_add_u32_e32 v10, 0x200, v0
	.loc	1 67 37                         ; group_norm_aot.py:67:37
	v_cmp_gt_i32_e64 s[2:3], s34, v10
	v_mov_b32_e32 v21, v16
	.loc	1 68 20                         ; group_norm_aot.py:68:20
	s_and_saveexec_b64 s[4:5], s[2:3]
	s_cbranch_execz .LBB0_33
; %bb.32:                               ;   in Loop: Header=BB0_27 Depth=1
	global_load_dword v21, v[6:7], off offset:2048
.LBB0_33:                               ;   in Loop: Header=BB0_27 Depth=1
	.loc	1 0 20 is_stmt 0                ; group_norm_aot.py:0:20
	s_or_b64 exec, exec, s[4:5]
	.loc	1 67 37 is_stmt 1               ; group_norm_aot.py:67:37
	v_add_u32_e32 v12, 0x300, v0
	v_cmp_gt_i32_e64 s[4:5], s34, v12
	v_mov_b32_e32 v22, v16
	.loc	1 68 20                         ; group_norm_aot.py:68:20
	s_and_saveexec_b64 s[6:7], s[4:5]
	s_cbranch_execz .LBB0_35
; %bb.34:                               ;   in Loop: Header=BB0_27 Depth=1
	global_load_dword v22, v[6:7], off offset:3072
.LBB0_35:                               ;   in Loop: Header=BB0_27 Depth=1
	.loc	1 0 20 is_stmt 0                ; group_norm_aot.py:0:20
	s_or_b64 exec, exec, s[6:7]
	.loc	1 70 47 is_stmt 1               ; group_norm_aot.py:70:47
	v_sub_u32_e32 v7, 0, v0
	v_max_i32_e32 v7, v7, v0
	v_mul_hi_u32 v9, v7, v18
	v_mul_lo_u32 v11, v9, s28
	v_sub_u32_e32 v7, v7, v11
	v_add_u32_e32 v11, 1, v9
	v_cmp_le_u32_e64 s[6:7], s28, v7
	v_xor_b32_e32 v6, s30, v1
	.loc	1 72 20                         ; group_norm_aot.py:72:20
	v_mov_b32_e32 v23, 0
	.loc	1 70 47                         ; group_norm_aot.py:70:47
	v_cndmask_b32_e64 v9, v9, v11, s[6:7]
	v_subrev_u32_e32 v11, s28, v7
	v_cndmask_b32_e64 v7, v7, v11, s[6:7]
	v_add_u32_e32 v11, 1, v9
	v_cmp_le_u32_e64 s[6:7], s28, v7
	v_mov_b32_e32 v24, v23
	s_nop 0
	v_cndmask_b32_e64 v7, v9, v11, s[6:7]
	v_xor_b32_e32 v7, v7, v6
	v_sub_u32_e32 v6, v7, v6
	.loc	1 71 58                         ; group_norm_aot.py:71:58
	v_add_u32_e32 v6, s29, v6
	.loc	1 72 20                         ; group_norm_aot.py:72:20
	s_and_saveexec_b64 s[6:7], vcc
	s_cbranch_execz .LBB0_37
; %bb.36:                               ;   in Loop: Header=BB0_27 Depth=1
	.loc	1 0 20 is_stmt 0                ; group_norm_aot.py:0:20
	v_ashrrev_i32_e32 v7, 31, v6
	v_lshl_add_u64 v[24:25], v[6:7], 2, s[20:21]
	.loc	1 72 20                         ; group_norm_aot.py:72:20
	global_load_dword v24, v[24:25], off
.LBB0_37:                               ;   in Loop: Header=BB0_27 Depth=1
	.loc	1 0 20                          ; group_norm_aot.py:0:20
	s_or_b64 exec, exec, s[6:7]
	.loc	1 70 47 is_stmt 1               ; group_norm_aot.py:70:47
	v_ashrrev_i32_e32 v7, 31, v8
	v_add3_u32 v9, v0, v7, s31
	v_xor_b32_e32 v8, s30, v7
	v_xor_b32_e32 v7, v9, v7
	v_mul_hi_u32 v9, v7, v18
	v_mul_lo_u32 v11, v9, s28
	v_sub_u32_e32 v7, v7, v11
	v_add_u32_e32 v11, 1, v9
	v_cmp_le_u32_e64 s[6:7], s28, v7
	s_nop 1
	v_cndmask_b32_e64 v9, v9, v11, s[6:7]
	v_subrev_u32_e32 v11, s28, v7
	v_cndmask_b32_e64 v7, v7, v11, s[6:7]
	v_add_u32_e32 v11, 1, v9
	v_cmp_le_u32_e64 s[6:7], s28, v7
	s_nop 1
	v_cndmask_b32_e64 v7, v9, v11, s[6:7]
	v_xor_b32_e32 v7, v7, v8
	v_sub_u32_e32 v7, v7, v8
	.loc	1 71 58                         ; group_norm_aot.py:71:58
	v_add_u32_e32 v8, s29, v7
	.loc	1 72 28                         ; group_norm_aot.py:72:28
	v_ashrrev_i32_e32 v9, 31, v8
	.loc	1 72 20 is_stmt 0               ; group_norm_aot.py:72:20
	s_and_saveexec_b64 s[6:7], s[0:1]
	s_cbranch_execz .LBB0_39
; %bb.38:                               ;   in Loop: Header=BB0_27 Depth=1
	.loc	1 72 28                         ; group_norm_aot.py:72:28
	v_lshl_add_u64 v[26:27], v[8:9], 2, s[20:21]
	.loc	1 72 20                         ; group_norm_aot.py:72:20
	global_load_dword v23, v[26:27], off
.LBB0_39:                               ;   in Loop: Header=BB0_27 Depth=1
	.loc	1 0 20                          ; group_norm_aot.py:0:20
	s_or_b64 exec, exec, s[6:7]
	.loc	1 70 47 is_stmt 1               ; group_norm_aot.py:70:47
	v_ashrrev_i32_e32 v7, 31, v10
	v_add3_u32 v11, v0, v7, s35
	v_xor_b32_e32 v10, s30, v7
	v_xor_b32_e32 v7, v11, v7
	v_mul_hi_u32 v11, v7, v18
	v_mul_lo_u32 v13, v11, s28
	v_sub_u32_e32 v7, v7, v13
	v_add_u32_e32 v13, 1, v11
	v_cmp_le_u32_e64 s[6:7], s28, v7
	.loc	1 72 20                         ; group_norm_aot.py:72:20
	v_mov_b32_e32 v25, 0
	v_mov_b32_e32 v26, v25
	.loc	1 70 47                         ; group_norm_aot.py:70:47
	v_cndmask_b32_e64 v11, v11, v13, s[6:7]
	v_subrev_u32_e32 v13, s28, v7
	v_cndmask_b32_e64 v7, v7, v13, s[6:7]
	v_add_u32_e32 v13, 1, v11
	v_cmp_le_u32_e64 s[6:7], s28, v7
	s_nop 1
	v_cndmask_b32_e64 v7, v11, v13, s[6:7]
	v_xor_b32_e32 v7, v7, v10
	v_sub_u32_e32 v7, v7, v10
	.loc	1 71 58                         ; group_norm_aot.py:71:58
	v_add_u32_e32 v10, s29, v7
	.loc	1 72 28                         ; group_norm_aot.py:72:28
	v_ashrrev_i32_e32 v11, 31, v10
	.loc	1 72 20 is_stmt 0               ; group_norm_aot.py:72:20
	s_and_saveexec_b64 s[6:7], s[2:3]
	s_cbranch_execz .LBB0_41
; %bb.40:                               ;   in Loop: Header=BB0_27 Depth=1
	.loc	1 72 28                         ; group_norm_aot.py:72:28
	v_lshl_add_u64 v[26:27], v[10:11], 2, s[20:21]
	.loc	1 72 20                         ; group_norm_aot.py:72:20
	global_load_dword v26, v[26:27], off
.LBB0_41:                               ;   in Loop: Header=BB0_27 Depth=1
	.loc	1 0 20                          ; group_norm_aot.py:0:20
	s_or_b64 exec, exec, s[6:7]
	.loc	1 70 47 is_stmt 1               ; group_norm_aot.py:70:47
	v_ashrrev_i32_e32 v7, 31, v12
	v_add3_u32 v13, v0, v7, s36
	v_xor_b32_e32 v12, s30, v7
	v_xor_b32_e32 v7, v13, v7
	v_mul_hi_u32 v13, v7, v18
	v_mul_lo_u32 v27, v13, s28
	v_sub_u32_e32 v7, v7, v27
	v_add_u32_e32 v27, 1, v13
	v_cmp_le_u32_e64 s[6:7], s28, v7
	s_nop 1
	v_cndmask_b32_e64 v13, v13, v27, s[6:7]
	v_subrev_u32_e32 v27, s28, v7
	v_cndmask_b32_e64 v7, v7, v27, s[6:7]
	v_add_u32_e32 v27, 1, v13
	v_cmp_le_u32_e64 s[6:7], s28, v7
	s_nop 1
	v_cndmask_b32_e64 v7, v13, v27, s[6:7]
	v_xor_b32_e32 v7, v7, v12
	v_sub_u32_e32 v7, v7, v12
	.loc	1 71 58                         ; group_norm_aot.py:71:58
	v_add_u32_e32 v12, s29, v7
	.loc	1 72 28                         ; group_norm_aot.py:72:28
	v_ashrrev_i32_e32 v13, 31, v12
	.loc	1 72 20 is_stmt 0               ; group_norm_aot.py:72:20
	s_and_saveexec_b64 s[6:7], s[4:5]
	s_cbranch_execz .LBB0_43
; %bb.42:                               ;   in Loop: Header=BB0_27 Depth=1
	.loc	1 72 28                         ; group_norm_aot.py:72:28
	v_lshl_add_u64 v[28:29], v[12:13], 2, s[20:21]
	.loc	1 72 20                         ; group_norm_aot.py:72:20
	global_load_dword v25, v[28:29], off
.LBB0_43:                               ;   in Loop: Header=BB0_27 Depth=1
	.loc	1 0 20                          ; group_norm_aot.py:0:20
	s_or_b64 exec, exec, s[6:7]
	.loc	1 73 20 is_stmt 1               ; group_norm_aot.py:73:20
	v_mov_b32_e32 v27, 0
	v_mov_b32_e32 v7, v27
	s_and_saveexec_b64 s[6:7], vcc
	s_cbranch_execz .LBB0_45
; %bb.44:                               ;   in Loop: Header=BB0_27 Depth=1
	.loc	1 0 20 is_stmt 0                ; group_norm_aot.py:0:20
	v_ashrrev_i32_e32 v7, 31, v6
	v_lshl_add_u64 v[6:7], v[6:7], 2, s[22:23]
	.loc	1 73 20                         ; group_norm_aot.py:73:20
	global_load_dword v7, v[6:7], off
.LBB0_45:                               ;   in Loop: Header=BB0_27 Depth=1
	.loc	1 0 20                          ; group_norm_aot.py:0:20
	s_or_b64 exec, exec, s[6:7]
	.loc	1 73 20                         ; group_norm_aot.py:73:20
	s_and_saveexec_b64 s[6:7], s[0:1]
	s_cbranch_execz .LBB0_47
; %bb.46:                               ;   in Loop: Header=BB0_27 Depth=1
	.loc	1 73 28                         ; group_norm_aot.py:73:28
	v_lshl_add_u64 v[8:9], v[8:9], 2, s[22:23]
	.loc	1 73 20                         ; group_norm_aot.py:73:20
	global_load_dword v27, v[8:9], off
.LBB0_47:                               ;   in Loop: Header=BB0_27 Depth=1
	.loc	1 0 20                          ; group_norm_aot.py:0:20
	s_or_b64 exec, exec, s[6:7]
	.loc	1 73 20                         ; group_norm_aot.py:73:20
	v_mov_b32_e32 v6, 0
	v_mov_b32_e32 v8, v6
	s_and_saveexec_b64 s[6:7], s[2:3]
	s_cbranch_execnz .LBB0_53
; %bb.48:                               ;   in Loop: Header=BB0_27 Depth=1
	.loc	1 0 20                          ; group_norm_aot.py:0:20
	s_or_b64 exec, exec, s[6:7]
	.loc	1 73 20                         ; group_norm_aot.py:73:20
	s_and_saveexec_b64 s[6:7], s[4:5]
	s_cbranch_execnz .LBB0_54
.LBB0_49:                               ;   in Loop: Header=BB0_27 Depth=1
	.loc	1 0 20                          ; group_norm_aot.py:0:20
	s_or_b64 exec, exec, s[6:7]
	.loc	1 75 46 is_stmt 1               ; group_norm_aot.py:75:46
	s_and_saveexec_b64 s[6:7], vcc
	s_cbranch_execnz .LBB0_55
.LBB0_50:                               ;   in Loop: Header=BB0_27 Depth=1
	.loc	1 0 46 is_stmt 0                ; group_norm_aot.py:0:46
	s_or_b64 exec, exec, s[6:7]
	.loc	1 75 25                         ; group_norm_aot.py:75:25
	v_lshl_add_u64 v[0:1], v[4:5], 2, s[26:27]
	.loc	1 75 46                         ; group_norm_aot.py:75:46
	s_and_saveexec_b64 s[6:7], s[0:1]
	s_cbranch_execnz .LBB0_56
.LBB0_51:                               ;   in Loop: Header=BB0_27 Depth=1
	.loc	1 0 46                          ; group_norm_aot.py:0:46
	s_or_b64 exec, exec, s[6:7]
	.loc	1 75 46                         ; group_norm_aot.py:75:46
	s_and_saveexec_b64 s[0:1], s[2:3]
	s_cbranch_execnz .LBB0_57
.LBB0_52:                               ;   in Loop: Header=BB0_27 Depth=1
	.loc	1 0 46                          ; group_norm_aot.py:0:46
	s_or_b64 exec, exec, s[0:1]
	.loc	1 75 46                         ; group_norm_aot.py:75:46
	s_and_saveexec_b64 s[0:1], s[4:5]
	s_cbranch_execz .LBB0_26
	s_branch .LBB0_58
.LBB0_53:                               ;   in Loop: Header=BB0_27 Depth=1
	.loc	1 73 28 is_stmt 1               ; group_norm_aot.py:73:28
	v_lshl_add_u64 v[8:9], v[10:11], 2, s[22:23]
	.loc	1 73 20 is_stmt 0               ; group_norm_aot.py:73:20
	global_load_dword v8, v[8:9], off
	s_or_b64 exec, exec, s[6:7]
	s_and_saveexec_b64 s[6:7], s[4:5]
	s_cbranch_execz .LBB0_49
.LBB0_54:                               ;   in Loop: Header=BB0_27 Depth=1
	.loc	1 73 28                         ; group_norm_aot.py:73:28
	v_lshl_add_u64 v[10:11], v[12:13], 2, s[22:23]
	.loc	1 73 20                         ; group_norm_aot.py:73:20
	global_load_dword v6, v[10:11], off
	s_or_b64 exec, exec, s[6:7]
	.loc	1 75 46 is_stmt 1               ; group_norm_aot.py:75:46
	s_and_saveexec_b64 s[6:7], vcc
	s_cbranch_execz .LBB0_50
.LBB0_55:                               ;   in Loop: Header=BB0_27 Depth=1
	.loc	1 0 46 is_stmt 0                ; group_norm_aot.py:0:46
	s_waitcnt vmcnt(0)
	v_sub_f32_e32 v9, v19, v16
	v_mul_f32_e32 v9, v17, v9
	v_lshl_add_u64 v[0:1], v[0:1], 2, s[26:27]
	v_fmac_f32_e32 v7, v9, v24
	.loc	1 75 46                         ; group_norm_aot.py:75:46
	global_store_dword v[0:1], v7, off
	s_or_b64 exec, exec, s[6:7]
	.loc	1 75 25                         ; group_norm_aot.py:75:25
	v_lshl_add_u64 v[0:1], v[4:5], 2, s[26:27]
	.loc	1 75 46                         ; group_norm_aot.py:75:46
	s_and_saveexec_b64 s[6:7], s[0:1]
	s_cbranch_execz .LBB0_51
.LBB0_56:                               ;   in Loop: Header=BB0_27 Depth=1
	.loc	1 74 17 is_stmt 1               ; group_norm_aot.py:74:17
	s_waitcnt vmcnt(0)
	v_sub_f32_e32 v4, v20, v16
	.loc	1 74 22 is_stmt 0               ; group_norm_aot.py:74:22
	v_mul_f32_e32 v4, v17, v4
	.loc	1 74 33                         ; group_norm_aot.py:74:33
	v_fmac_f32_e32 v27, v4, v23
	.loc	1 75 46 is_stmt 1               ; group_norm_aot.py:75:46
	global_store_dword v[0:1], v27, off offset:1024
	s_or_b64 exec, exec, s[6:7]
	s_and_saveexec_b64 s[0:1], s[2:3]
	s_cbranch_execz .LBB0_52
.LBB0_57:                               ;   in Loop: Header=BB0_27 Depth=1
	.loc	1 74 17                         ; group_norm_aot.py:74:17
	s_waitcnt vmcnt(0)
	v_sub_f32_e32 v4, v21, v16
	.loc	1 74 22 is_stmt 0               ; group_norm_aot.py:74:22
	v_mul_f32_e32 v4, v17, v4
	.loc	1 74 33                         ; group_norm_aot.py:74:33
	v_fmac_f32_e32 v8, v4, v26
	.loc	1 75 46 is_stmt 1               ; group_norm_aot.py:75:46
	global_store_dword v[0:1], v8, off offset:2048
	s_or_b64 exec, exec, s[0:1]
	s_and_saveexec_b64 s[0:1], s[4:5]
	s_cbranch_execz .LBB0_26
.LBB0_58:                               ;   in Loop: Header=BB0_27 Depth=1
	.loc	1 74 17                         ; group_norm_aot.py:74:17
	s_waitcnt vmcnt(0)
	v_sub_f32_e32 v4, v22, v16
	.loc	1 74 22 is_stmt 0               ; group_norm_aot.py:74:22
	v_mul_f32_e32 v4, v17, v4
	.loc	1 74 33                         ; group_norm_aot.py:74:33
	v_fmac_f32_e32 v6, v4, v25
	.loc	1 75 46 is_stmt 1               ; group_norm_aot.py:75:46
	global_store_dword v[0:1], v6, off offset:3072
	s_branch .LBB0_26
.LBB0_59:                               ; %._crit_edge7
	.loc	1 78 83                         ; group_norm_aot.py:78:83
	s_lshr_b32 s0, s33, 6
	.loc	1 77 83                         ; group_norm_aot.py:77:83
	v_or_b32_e32 v0, s0, v14
	v_cmp_eq_u32_e32 vcc, 0, v0
	s_and_saveexec_b64 s[0:1], vcc
	s_cbranch_execz .LBB0_61
; %bb.60:
	.loc	1 77 36 is_stmt 0               ; group_norm_aot.py:77:36
	s_mul_i32 s0, s12, s16
	.loc	1 77 24                         ; group_norm_aot.py:77:24
	s_ashr_i32 s1, s0, 31
	s_lshl_b64 s[0:1], s[0:1], 2
	s_add_u32 s2, s10, s0
	.loc	1 77 66                         ; group_norm_aot.py:77:66
	s_mul_i32 s0, s13, s17
	.loc	1 77 24                         ; group_norm_aot.py:77:24
	s_addc_u32 s3, s11, s1
	.loc	1 77 54                         ; group_norm_aot.py:77:54
	s_ashr_i32 s1, s0, 31
	s_lshl_b64 s[0:1], s[0:1], 2
	s_add_u32 s0, s2, s0
	s_addc_u32 s1, s3, s1
	v_mov_b32_e32 v0, 0
	.loc	1 77 83                         ; group_norm_aot.py:77:83
	global_store_dword v0, v16, s[0:1]
	.loc	1 78 36 is_stmt 1               ; group_norm_aot.py:78:36
	s_mul_i32 s0, s8, s16
	.loc	1 78 24 is_stmt 0               ; group_norm_aot.py:78:24
	s_ashr_i32 s1, s0, 31
	s_lshl_b64 s[0:1], s[0:1], 2
	s_add_u32 s2, s14, s0
	.loc	1 78 66                         ; group_norm_aot.py:78:66
	s_mul_i32 s0, s9, s17
	.loc	1 78 24                         ; group_norm_aot.py:78:24
	s_addc_u32 s3, s15, s1
	.loc	1 78 54                         ; group_norm_aot.py:78:54
	s_ashr_i32 s1, s0, 31
	s_lshl_b64 s[0:1], s[0:1], 2
	s_add_u32 s0, s2, s0
	s_addc_u32 s1, s3, s1
	.loc	1 78 83                         ; group_norm_aot.py:78:83
	global_store_dword v0, v17, s[0:1]
.LBB0_61:                               ; %.critedge
	.loc	1 78 4 is_stmt 1                ; group_norm_aot.py:78:4
	s_endpgm
.Ltmp31:
	.section	.rodata,"a",@progbits
	.p2align	6, 0x0
	.amdhsa_kernel _group_norm_forward_kernel
		.amdhsa_group_segment_fixed_size 0
		.amdhsa_private_segment_fixed_size 0
		.amdhsa_kernarg_size 112
		.amdhsa_user_sgpr_count 16
		.amdhsa_user_sgpr_dispatch_ptr 0
		.amdhsa_user_sgpr_queue_ptr 0
		.amdhsa_user_sgpr_kernarg_segment_ptr 1
		.amdhsa_user_sgpr_dispatch_id 0
		.amdhsa_user_sgpr_kernarg_preload_length 14
		.amdhsa_user_sgpr_kernarg_preload_offset 0
		.amdhsa_user_sgpr_private_segment_size 0
		.amdhsa_uses_dynamic_stack 0
		.amdhsa_enable_private_segment 0
		.amdhsa_system_sgpr_workgroup_id_x 1
		.amdhsa_system_sgpr_workgroup_id_y 1
		.amdhsa_system_sgpr_workgroup_id_z 0
		.amdhsa_system_sgpr_workgroup_info 0
		.amdhsa_system_vgpr_workitem_id 0
		.amdhsa_next_free_vgpr 30
		.amdhsa_next_free_sgpr 37
		.amdhsa_accum_offset 32
		.amdhsa_reserve_vcc 1
		.amdhsa_reserve_xnack_mask 1
		.amdhsa_float_round_mode_32 0
		.amdhsa_float_round_mode_16_64 0
		.amdhsa_float_denorm_mode_32 3
		.amdhsa_float_denorm_mode_16_64 3
		.amdhsa_dx10_clamp 1
		.amdhsa_ieee_mode 1
		.amdhsa_fp16_overflow 0
		.amdhsa_tg_split 0
		.amdhsa_exception_fp_ieee_invalid_op 0
		.amdhsa_exception_fp_denorm_src 0
		.amdhsa_exception_fp_ieee_div_zero 0
		.amdhsa_exception_fp_ieee_overflow 0
		.amdhsa_exception_fp_ieee_underflow 0
		.amdhsa_exception_fp_ieee_inexact 0
		.amdhsa_exception_int_div_zero 0
	.end_amdhsa_kernel
	.text
.Lfunc_end0:
	.size	_group_norm_forward_kernel, .Lfunc_end0-_group_norm_forward_kernel
	.cfi_endproc
                                        ; -- End function
	.set _group_norm_forward_kernel.num_vgpr, 30
	.set _group_norm_forward_kernel.num_agpr, 0
	.set _group_norm_forward_kernel.numbered_sgpr, 37
	.set _group_norm_forward_kernel.num_named_barrier, 0
	.set _group_norm_forward_kernel.private_seg_size, 0
	.set _group_norm_forward_kernel.uses_vcc, 1
	.set _group_norm_forward_kernel.uses_flat_scratch, 0
	.set _group_norm_forward_kernel.has_dyn_sized_stack, 0
	.set _group_norm_forward_kernel.has_recursion, 0
	.set _group_norm_forward_kernel.has_indirect_call, 0
	.section	.AMDGPU.csdata,"",@progbits
; Kernel info:
; codeLenInByte = 2796
; TotalNumSgprs: 43
; NumVgprs: 30
; NumAgprs: 0
; TotalNumVgprs: 30
; ScratchSize: 0
; MemoryBound: 0
; FloatMode: 240
; IeeeMode: 1
; LDSByteSize: 0 bytes/workgroup (compile time only)
; SGPRBlocks: 5
; VGPRBlocks: 3
; NumSGPRsForWavesPerEU: 43
; NumVGPRsForWavesPerEU: 30
; AccumOffset: 32
; Occupancy: 8
; WaveLimiterHint : 0
; COMPUTE_PGM_RSRC2:SCRATCH_EN: 0
; COMPUTE_PGM_RSRC2:USER_SGPR: 16
; COMPUTE_PGM_RSRC2:TRAP_HANDLER: 0
; COMPUTE_PGM_RSRC2:TGID_X_EN: 1
; COMPUTE_PGM_RSRC2:TGID_Y_EN: 1
; COMPUTE_PGM_RSRC2:TGID_Z_EN: 0
; COMPUTE_PGM_RSRC2:TIDIG_COMP_CNT: 0
; COMPUTE_PGM_RSRC3_GFX90A:ACCUM_OFFSET: 7
; COMPUTE_PGM_RSRC3_GFX90A:TG_SPLIT: 0
	.text
	.p2alignl 6, 3212836864
	.fill 256, 4, 3212836864
	.section	.AMDGPU.gpr_maximums,"",@progbits
	.set amdgpu.max_num_vgpr, 0
	.set amdgpu.max_num_agpr, 0
	.set amdgpu.max_num_sgpr, 0
	.set amdgpu.max_num_named_barrier, 0
	.text
	.section	.debug_abbrev,"",@progbits
	.byte	1                               ; Abbreviation Code
	.byte	17                              ; DW_TAG_compile_unit
	.byte	1                               ; DW_CHILDREN_yes
	.byte	37                              ; DW_AT_producer
	.byte	14                              ; DW_FORM_strp
	.byte	19                              ; DW_AT_language
	.byte	5                               ; DW_FORM_data2
	.byte	3                               ; DW_AT_name
	.byte	14                              ; DW_FORM_strp
	.byte	16                              ; DW_AT_stmt_list
	.byte	23                              ; DW_FORM_sec_offset
	.byte	27                              ; DW_AT_comp_dir
	.byte	14                              ; DW_FORM_strp
	.byte	17                              ; DW_AT_low_pc
	.byte	1                               ; DW_FORM_addr
	.byte	18                              ; DW_AT_high_pc
	.byte	6                               ; DW_FORM_data4
	.byte	0                               ; EOM(1)
	.byte	0                               ; EOM(2)
	.byte	2                               ; Abbreviation Code
	.byte	46                              ; DW_TAG_subprogram
	.byte	0                               ; DW_CHILDREN_no
	.byte	3                               ; DW_AT_name
	.byte	14                              ; DW_FORM_strp
	.byte	32                              ; DW_AT_inline
	.byte	11                              ; DW_FORM_data1
	.byte	0                               ; EOM(1)
	.byte	0                               ; EOM(2)
	.byte	3                               ; Abbreviation Code
	.byte	46                              ; DW_TAG_subprogram
	.byte	1                               ; DW_CHILDREN_yes
	.byte	17                              ; DW_AT_low_pc
	.byte	1                               ; DW_FORM_addr
	.byte	18                              ; DW_AT_high_pc
	.byte	6                               ; DW_FORM_data4
	.byte	49                              ; DW_AT_abstract_origin
	.byte	19                              ; DW_FORM_ref4
	.byte	0                               ; EOM(1)
	.byte	0                               ; EOM(2)
	.byte	4                               ; Abbreviation Code
	.byte	29                              ; DW_TAG_inlined_subroutine
	.byte	1                               ; DW_CHILDREN_yes
	.byte	49                              ; DW_AT_abstract_origin
	.byte	19                              ; DW_FORM_ref4
	.byte	85                              ; DW_AT_ranges
	.byte	23                              ; DW_FORM_sec_offset
	.byte	88                              ; DW_AT_call_file
	.byte	11                              ; DW_FORM_data1
	.byte	89                              ; DW_AT_call_line
	.byte	11                              ; DW_FORM_data1
	.byte	87                              ; DW_AT_call_column
	.byte	11                              ; DW_FORM_data1
	.byte	0                               ; EOM(1)
	.byte	0                               ; EOM(2)
	.byte	5                               ; Abbreviation Code
	.byte	29                              ; DW_TAG_inlined_subroutine
	.byte	0                               ; DW_CHILDREN_no
	.byte	49                              ; DW_AT_abstract_origin
	.byte	19                              ; DW_FORM_ref4
	.byte	85                              ; DW_AT_ranges
	.byte	23                              ; DW_FORM_sec_offset
	.byte	88                              ; DW_AT_call_file
	.byte	11                              ; DW_FORM_data1
	.byte	89                              ; DW_AT_call_line
	.byte	5                               ; DW_FORM_data2
	.byte	87                              ; DW_AT_call_column
	.byte	11                              ; DW_FORM_data1
	.byte	0                               ; EOM(1)
	.byte	0                               ; EOM(2)
	;; [unrolled: 1-line block ×3, first 2 shown]
	.section	.debug_info,"",@progbits
.Lcu_begin0:
	.long	.Ldebug_info_end0-.Ldebug_info_start0 ; Length of Unit
.Ldebug_info_start0:
	.short	4                               ; DWARF version number
	.long	.debug_abbrev                   ; Offset Into Abbrev. Section
	.byte	8                               ; Address Size (in bytes)
	.byte	1                               ; Abbrev [1] 0xb:0x6c DW_TAG_compile_unit
	.long	.Linfo_string0                  ; DW_AT_producer
	.short	2                               ; DW_AT_language
	.long	.Linfo_string1                  ; DW_AT_name
	.long	.Lline_table_start0             ; DW_AT_stmt_list
	.long	.Linfo_string2                  ; DW_AT_comp_dir
	.quad	.Lfunc_begin0                   ; DW_AT_low_pc
	.long	.Lfunc_end0-.Lfunc_begin0       ; DW_AT_high_pc
	.byte	2                               ; Abbrev [2] 0x2a:0x6 DW_TAG_subprogram
	.long	.Linfo_string3                  ; DW_AT_name
	.byte	1                               ; DW_AT_inline
	.byte	3                               ; Abbrev [3] 0x30:0x46 DW_TAG_subprogram
	.quad	.Lfunc_begin0                   ; DW_AT_low_pc
	.long	.Lfunc_end0-.Lfunc_begin0       ; DW_AT_high_pc
	.long	42                              ; DW_AT_abstract_origin
	.byte	4                               ; Abbrev [4] 0x41:0x1a DW_TAG_inlined_subroutine
	.long	42                              ; DW_AT_abstract_origin
	.long	.Ldebug_ranges0                 ; DW_AT_ranges
	.byte	1                               ; DW_AT_call_file
	.byte	51                              ; DW_AT_call_line
	.byte	30                              ; DW_AT_call_column
	.byte	5                               ; Abbrev [5] 0x4d:0xd DW_TAG_inlined_subroutine
	.long	42                              ; DW_AT_abstract_origin
	.long	.Ldebug_ranges1                 ; DW_AT_ranges
	.byte	2                               ; DW_AT_call_file
	.short	293                             ; DW_AT_call_line
	.byte	36                              ; DW_AT_call_column
	.byte	0                               ; End Of Children Mark
	.byte	4                               ; Abbrev [4] 0x5b:0x1a DW_TAG_inlined_subroutine
	.long	42                              ; DW_AT_abstract_origin
	.long	.Ldebug_ranges2                 ; DW_AT_ranges
	.byte	1                               ; DW_AT_call_file
	.byte	49                              ; DW_AT_call_line
	.byte	20                              ; DW_AT_call_column
	.byte	5                               ; Abbrev [5] 0x67:0xd DW_TAG_inlined_subroutine
	.long	42                              ; DW_AT_abstract_origin
	.long	.Ldebug_ranges3                 ; DW_AT_ranges
	.byte	2                               ; DW_AT_call_file
	.short	293                             ; DW_AT_call_line
	.byte	36                              ; DW_AT_call_column
	.byte	0                               ; End Of Children Mark
	.byte	0                               ; End Of Children Mark
	;; [unrolled: 1-line block ×3, first 2 shown]
.Ldebug_info_end0:
	.section	.debug_ranges,"",@progbits
.Ldebug_ranges0:
	.quad	.Ltmp2-.Lfunc_begin0
	.quad	.Ltmp3-.Lfunc_begin0
	;; [unrolled: 1-line block ×10, first 2 shown]
	.quad	0
	.quad	0
.Ldebug_ranges1:
	.quad	.Ltmp15-.Lfunc_begin0
	.quad	.Ltmp16-.Lfunc_begin0
	;; [unrolled: 1-line block ×12, first 2 shown]
	.quad	0
	.quad	0
.Ldebug_ranges2:
	.quad	.Ltmp4-.Lfunc_begin0
	.quad	.Ltmp10-.Lfunc_begin0
	.quad	.Ltmp11-.Lfunc_begin0
	.quad	.Ltmp14-.Lfunc_begin0
	.quad	.Ltmp16-.Lfunc_begin0
	.quad	.Ltmp17-.Lfunc_begin0
	.quad	.Ltmp18-.Lfunc_begin0
	.quad	.Ltmp19-.Lfunc_begin0
	.quad	0
	.quad	0
.Ldebug_ranges3:
	.quad	.Ltmp4-.Lfunc_begin0
	.quad	.Ltmp5-.Lfunc_begin0
	.quad	.Ltmp6-.Lfunc_begin0
	.quad	.Ltmp7-.Lfunc_begin0
	.quad	.Ltmp8-.Lfunc_begin0
	.quad	.Ltmp9-.Lfunc_begin0
	.quad	.Ltmp12-.Lfunc_begin0
	.quad	.Ltmp13-.Lfunc_begin0
	.quad	0
	.quad	0
	.section	.debug_str,"MS",@progbits,1
.Linfo_string0:
	.asciz	"triton"                        ; string offset=0
.Linfo_string1:
	.asciz	"group_norm_aot.py"             ; string offset=7
.Linfo_string2:
	.asciz	"/root/src/amdgpu-assembly/repos/linkedin__Liger-Kernel/triton_aot_kernels" ; string offset=25
.Linfo_string3:
	.asciz	"_group_norm_forward_kernel"    ; string offset=99
	.section	".note.GNU-stack","",@progbits
	.amdgpu_metadata
---
amdhsa.kernels:
  - .agpr_count:     0
    .args:
      - .address_space:  global
        .offset:         0
        .size:           8
        .value_kind:     global_buffer
      - .offset:         8
        .size:           4
        .value_kind:     by_value
      - .offset:         12
        .size:           4
        .value_kind:     by_value
      - .address_space:  global
        .offset:         16
        .size:           8
        .value_kind:     global_buffer
      - .offset:         24
        .size:           4
        .value_kind:     by_value
      - .offset:         28
        .size:           4
        .value_kind:     by_value
      - .address_space:  global
        .offset:         32
        .size:           8
        .value_kind:     global_buffer
      - .offset:         40
        .size:           4
        .value_kind:     by_value
      - .offset:         44
        .size:           4
        .value_kind:     by_value
      - .address_space:  global
        .offset:         48
        .size:           8
        .value_kind:     global_buffer
      - .offset:         56
        .size:           4
        .value_kind:     by_value
      - .offset:         60
        .size:           4
        .value_kind:     by_value
      - .address_space:  global
        .offset:         64
        .size:           8
        .value_kind:     global_buffer
      - .address_space:  global
        .offset:         72
        .size:           8
        .value_kind:     global_buffer
      - .offset:         80
        .size:           4
        .value_kind:     by_value
      - .offset:         84
        .size:           4
        .value_kind:     by_value
      - .offset:         88
        .size:           4
        .value_kind:     by_value
      - .address_space:  global
        .offset:         96
        .size:           8
        .value_kind:     global_buffer
      - .address_space:  global
        .offset:         104
        .size:           8
        .value_kind:     global_buffer
    .group_segment_fixed_size: 0
    .kernarg_segment_align: 8
    .kernarg_segment_size: 112
    .max_flat_workgroup_size: 256
    .name:           _group_norm_forward_kernel
    .private_segment_fixed_size: 0
    .sgpr_count:     43
    .sgpr_spill_count: 0
    .symbol:         _group_norm_forward_kernel.kd
    .uniform_work_group_size: 1
    .uses_dynamic_stack: false
    .vgpr_count:     30
    .vgpr_spill_count: 0
    .wavefront_size: 64
amdhsa.target:   amdgcn-amd-amdhsa--gfx950
amdhsa.version:
  - 1
  - 2
...

	.end_amdgpu_metadata
	.section	.debug_line,"",@progbits
.Lline_table_start0:
